;; amdgpu-corpus repo=ROCm/rocFFT kind=compiled arch=gfx906 opt=O3
	.text
	.amdgcn_target "amdgcn-amd-amdhsa--gfx906"
	.amdhsa_code_object_version 6
	.protected	fft_rtc_fwd_len1750_factors_2_5_5_7_5_wgs_175_tpt_175_halfLds_sp_ip_CI_unitstride_sbrr_dirReg ; -- Begin function fft_rtc_fwd_len1750_factors_2_5_5_7_5_wgs_175_tpt_175_halfLds_sp_ip_CI_unitstride_sbrr_dirReg
	.globl	fft_rtc_fwd_len1750_factors_2_5_5_7_5_wgs_175_tpt_175_halfLds_sp_ip_CI_unitstride_sbrr_dirReg
	.p2align	8
	.type	fft_rtc_fwd_len1750_factors_2_5_5_7_5_wgs_175_tpt_175_halfLds_sp_ip_CI_unitstride_sbrr_dirReg,@function
fft_rtc_fwd_len1750_factors_2_5_5_7_5_wgs_175_tpt_175_halfLds_sp_ip_CI_unitstride_sbrr_dirReg: ; @fft_rtc_fwd_len1750_factors_2_5_5_7_5_wgs_175_tpt_175_halfLds_sp_ip_CI_unitstride_sbrr_dirReg
; %bb.0:
	s_load_dwordx2 s[2:3], s[4:5], 0x50
	s_load_dwordx4 s[8:11], s[4:5], 0x0
	s_load_dwordx2 s[12:13], s[4:5], 0x18
	v_mul_u32_u24_e32 v1, 0x177, v0
	v_add_u32_sdwa v5, s6, v1 dst_sel:DWORD dst_unused:UNUSED_PAD src0_sel:DWORD src1_sel:WORD_1
	v_mov_b32_e32 v3, 0
	s_waitcnt lgkmcnt(0)
	v_cmp_lt_u64_e64 s[0:1], s[10:11], 2
	v_mov_b32_e32 v1, 0
	v_mov_b32_e32 v6, v3
	s_and_b64 vcc, exec, s[0:1]
	v_mov_b32_e32 v2, 0
	s_cbranch_vccnz .LBB0_8
; %bb.1:
	s_load_dwordx2 s[0:1], s[4:5], 0x10
	s_add_u32 s6, s12, 8
	s_addc_u32 s7, s13, 0
	v_mov_b32_e32 v1, 0
	v_mov_b32_e32 v2, 0
	s_waitcnt lgkmcnt(0)
	s_add_u32 s14, s0, 8
	s_addc_u32 s15, s1, 0
	s_mov_b64 s[16:17], 1
.LBB0_2:                                ; =>This Inner Loop Header: Depth=1
	s_load_dwordx2 s[18:19], s[14:15], 0x0
                                        ; implicit-def: $vgpr7_vgpr8
	s_waitcnt lgkmcnt(0)
	v_or_b32_e32 v4, s19, v6
	v_cmp_ne_u64_e32 vcc, 0, v[3:4]
	s_and_saveexec_b64 s[0:1], vcc
	s_xor_b64 s[20:21], exec, s[0:1]
	s_cbranch_execz .LBB0_4
; %bb.3:                                ;   in Loop: Header=BB0_2 Depth=1
	v_cvt_f32_u32_e32 v4, s18
	v_cvt_f32_u32_e32 v7, s19
	s_sub_u32 s0, 0, s18
	s_subb_u32 s1, 0, s19
	v_mac_f32_e32 v4, 0x4f800000, v7
	v_rcp_f32_e32 v4, v4
	v_mul_f32_e32 v4, 0x5f7ffffc, v4
	v_mul_f32_e32 v7, 0x2f800000, v4
	v_trunc_f32_e32 v7, v7
	v_mac_f32_e32 v4, 0xcf800000, v7
	v_cvt_u32_f32_e32 v7, v7
	v_cvt_u32_f32_e32 v4, v4
	v_mul_lo_u32 v8, s0, v7
	v_mul_hi_u32 v9, s0, v4
	v_mul_lo_u32 v11, s1, v4
	v_mul_lo_u32 v10, s0, v4
	v_add_u32_e32 v8, v9, v8
	v_add_u32_e32 v8, v8, v11
	v_mul_hi_u32 v9, v4, v10
	v_mul_lo_u32 v11, v4, v8
	v_mul_hi_u32 v13, v4, v8
	v_mul_hi_u32 v12, v7, v10
	v_mul_lo_u32 v10, v7, v10
	v_mul_hi_u32 v14, v7, v8
	v_add_co_u32_e32 v9, vcc, v9, v11
	v_addc_co_u32_e32 v11, vcc, 0, v13, vcc
	v_mul_lo_u32 v8, v7, v8
	v_add_co_u32_e32 v9, vcc, v9, v10
	v_addc_co_u32_e32 v9, vcc, v11, v12, vcc
	v_addc_co_u32_e32 v10, vcc, 0, v14, vcc
	v_add_co_u32_e32 v8, vcc, v9, v8
	v_addc_co_u32_e32 v9, vcc, 0, v10, vcc
	v_add_co_u32_e32 v4, vcc, v4, v8
	v_addc_co_u32_e32 v7, vcc, v7, v9, vcc
	v_mul_lo_u32 v8, s0, v7
	v_mul_hi_u32 v9, s0, v4
	v_mul_lo_u32 v10, s1, v4
	v_mul_lo_u32 v11, s0, v4
	v_add_u32_e32 v8, v9, v8
	v_add_u32_e32 v8, v8, v10
	v_mul_lo_u32 v12, v4, v8
	v_mul_hi_u32 v13, v4, v11
	v_mul_hi_u32 v14, v4, v8
	;; [unrolled: 1-line block ×3, first 2 shown]
	v_mul_lo_u32 v11, v7, v11
	v_mul_hi_u32 v9, v7, v8
	v_add_co_u32_e32 v12, vcc, v13, v12
	v_addc_co_u32_e32 v13, vcc, 0, v14, vcc
	v_mul_lo_u32 v8, v7, v8
	v_add_co_u32_e32 v11, vcc, v12, v11
	v_addc_co_u32_e32 v10, vcc, v13, v10, vcc
	v_addc_co_u32_e32 v9, vcc, 0, v9, vcc
	v_add_co_u32_e32 v8, vcc, v10, v8
	v_addc_co_u32_e32 v9, vcc, 0, v9, vcc
	v_add_co_u32_e32 v4, vcc, v4, v8
	v_addc_co_u32_e32 v9, vcc, v7, v9, vcc
	v_mad_u64_u32 v[7:8], s[0:1], v5, v9, 0
	v_mul_hi_u32 v10, v5, v4
	v_add_co_u32_e32 v11, vcc, v10, v7
	v_addc_co_u32_e32 v12, vcc, 0, v8, vcc
	v_mad_u64_u32 v[7:8], s[0:1], v6, v4, 0
	v_mad_u64_u32 v[9:10], s[0:1], v6, v9, 0
	v_add_co_u32_e32 v4, vcc, v11, v7
	v_addc_co_u32_e32 v4, vcc, v12, v8, vcc
	v_addc_co_u32_e32 v7, vcc, 0, v10, vcc
	v_add_co_u32_e32 v4, vcc, v4, v9
	v_addc_co_u32_e32 v9, vcc, 0, v7, vcc
	v_mul_lo_u32 v10, s19, v4
	v_mul_lo_u32 v11, s18, v9
	v_mad_u64_u32 v[7:8], s[0:1], s18, v4, 0
	v_add3_u32 v8, v8, v11, v10
	v_sub_u32_e32 v10, v6, v8
	v_mov_b32_e32 v11, s19
	v_sub_co_u32_e32 v7, vcc, v5, v7
	v_subb_co_u32_e64 v10, s[0:1], v10, v11, vcc
	v_subrev_co_u32_e64 v11, s[0:1], s18, v7
	v_subbrev_co_u32_e64 v10, s[0:1], 0, v10, s[0:1]
	v_cmp_le_u32_e64 s[0:1], s19, v10
	v_cndmask_b32_e64 v12, 0, -1, s[0:1]
	v_cmp_le_u32_e64 s[0:1], s18, v11
	v_cndmask_b32_e64 v11, 0, -1, s[0:1]
	v_cmp_eq_u32_e64 s[0:1], s19, v10
	v_cndmask_b32_e64 v10, v12, v11, s[0:1]
	v_add_co_u32_e64 v11, s[0:1], 2, v4
	v_addc_co_u32_e64 v12, s[0:1], 0, v9, s[0:1]
	v_add_co_u32_e64 v13, s[0:1], 1, v4
	v_addc_co_u32_e64 v14, s[0:1], 0, v9, s[0:1]
	v_subb_co_u32_e32 v8, vcc, v6, v8, vcc
	v_cmp_ne_u32_e64 s[0:1], 0, v10
	v_cmp_le_u32_e32 vcc, s19, v8
	v_cndmask_b32_e64 v10, v14, v12, s[0:1]
	v_cndmask_b32_e64 v12, 0, -1, vcc
	v_cmp_le_u32_e32 vcc, s18, v7
	v_cndmask_b32_e64 v7, 0, -1, vcc
	v_cmp_eq_u32_e32 vcc, s19, v8
	v_cndmask_b32_e32 v7, v12, v7, vcc
	v_cmp_ne_u32_e32 vcc, 0, v7
	v_cndmask_b32_e64 v7, v13, v11, s[0:1]
	v_cndmask_b32_e32 v8, v9, v10, vcc
	v_cndmask_b32_e32 v7, v4, v7, vcc
.LBB0_4:                                ;   in Loop: Header=BB0_2 Depth=1
	s_andn2_saveexec_b64 s[0:1], s[20:21]
	s_cbranch_execz .LBB0_6
; %bb.5:                                ;   in Loop: Header=BB0_2 Depth=1
	v_cvt_f32_u32_e32 v4, s18
	s_sub_i32 s20, 0, s18
	v_rcp_iflag_f32_e32 v4, v4
	v_mul_f32_e32 v4, 0x4f7ffffe, v4
	v_cvt_u32_f32_e32 v4, v4
	v_mul_lo_u32 v7, s20, v4
	v_mul_hi_u32 v7, v4, v7
	v_add_u32_e32 v4, v4, v7
	v_mul_hi_u32 v4, v5, v4
	v_mul_lo_u32 v7, v4, s18
	v_add_u32_e32 v8, 1, v4
	v_sub_u32_e32 v7, v5, v7
	v_subrev_u32_e32 v9, s18, v7
	v_cmp_le_u32_e32 vcc, s18, v7
	v_cndmask_b32_e32 v7, v7, v9, vcc
	v_cndmask_b32_e32 v4, v4, v8, vcc
	v_add_u32_e32 v8, 1, v4
	v_cmp_le_u32_e32 vcc, s18, v7
	v_cndmask_b32_e32 v7, v4, v8, vcc
	v_mov_b32_e32 v8, v3
.LBB0_6:                                ;   in Loop: Header=BB0_2 Depth=1
	s_or_b64 exec, exec, s[0:1]
	v_mul_lo_u32 v4, v8, s18
	v_mul_lo_u32 v11, v7, s19
	v_mad_u64_u32 v[9:10], s[0:1], v7, s18, 0
	s_load_dwordx2 s[0:1], s[6:7], 0x0
	s_add_u32 s16, s16, 1
	v_add3_u32 v4, v10, v11, v4
	v_sub_co_u32_e32 v5, vcc, v5, v9
	v_subb_co_u32_e32 v4, vcc, v6, v4, vcc
	s_waitcnt lgkmcnt(0)
	v_mul_lo_u32 v4, s0, v4
	v_mul_lo_u32 v6, s1, v5
	v_mad_u64_u32 v[1:2], s[0:1], s0, v5, v[1:2]
	s_addc_u32 s17, s17, 0
	s_add_u32 s6, s6, 8
	v_add3_u32 v2, v6, v2, v4
	v_mov_b32_e32 v4, s10
	v_mov_b32_e32 v5, s11
	s_addc_u32 s7, s7, 0
	v_cmp_ge_u64_e32 vcc, s[16:17], v[4:5]
	s_add_u32 s14, s14, 8
	s_addc_u32 s15, s15, 0
	s_cbranch_vccnz .LBB0_9
; %bb.7:                                ;   in Loop: Header=BB0_2 Depth=1
	v_mov_b32_e32 v5, v7
	v_mov_b32_e32 v6, v8
	s_branch .LBB0_2
.LBB0_8:
	v_mov_b32_e32 v8, v6
	v_mov_b32_e32 v7, v5
.LBB0_9:
	s_lshl_b64 s[0:1], s[10:11], 3
	s_add_u32 s0, s12, s0
	s_addc_u32 s1, s13, s1
	s_load_dwordx2 s[6:7], s[0:1], 0x0
	s_load_dwordx2 s[10:11], s[4:5], 0x20
                                        ; implicit-def: $vgpr19
                                        ; implicit-def: $vgpr9
                                        ; implicit-def: $vgpr17
                                        ; implicit-def: $vgpr13
	s_waitcnt lgkmcnt(0)
	v_mad_u64_u32 v[1:2], s[0:1], s6, v7, v[1:2]
	s_mov_b32 s0, 0x1767dcf
	v_mul_lo_u32 v3, s6, v8
	v_mul_lo_u32 v4, s7, v7
	v_mul_hi_u32 v5, v0, s0
	v_cmp_gt_u64_e64 s[0:1], s[10:11], v[7:8]
                                        ; implicit-def: $vgpr7
	v_add3_u32 v2, v4, v2, v3
	v_mul_u32_u24_e32 v3, 0xaf, v5
	v_mov_b32_e32 v4, 0
	v_mov_b32_e32 v5, 0
	v_sub_u32_e32 v0, v0, v3
	v_lshlrev_b64 v[2:3], 3, v[1:2]
	v_mov_b32_e32 v11, v5
	v_mov_b32_e32 v23, v5
	;; [unrolled: 1-line block ×8, first 2 shown]
	s_and_saveexec_b64 s[4:5], s[0:1]
	s_cbranch_execz .LBB0_11
; %bb.10:
	v_mov_b32_e32 v1, 0
	v_mov_b32_e32 v4, s3
	v_add_co_u32_e32 v6, vcc, s2, v2
	v_addc_co_u32_e32 v7, vcc, v4, v3, vcc
	v_lshlrev_b64 v[4:5], 3, v[0:1]
	v_add_co_u32_e32 v24, vcc, v6, v4
	v_addc_co_u32_e32 v25, vcc, v7, v5, vcc
	v_add_co_u32_e32 v26, vcc, 0x1000, v24
	v_addc_co_u32_e32 v27, vcc, 0, v25, vcc
	;; [unrolled: 2-line block ×3, first 2 shown]
	v_add_co_u32_e32 v30, vcc, 0x3000, v24
	global_load_dwordx2 v[16:17], v[28:29], off offset:1608
	v_addc_co_u32_e32 v31, vcc, 0, v25, vcc
	global_load_dwordx2 v[4:5], v[24:25], off
	global_load_dwordx2 v[10:11], v[24:25], off offset:1400
	global_load_dwordx2 v[22:23], v[24:25], off offset:2800
	;; [unrolled: 1-line block ×8, first 2 shown]
.LBB0_11:
	s_or_b64 exec, exec, s[4:5]
	s_waitcnt vmcnt(1)
	v_sub_f32_e32 v19, v21, v19
	v_sub_f32_e32 v27, v20, v18
	;; [unrolled: 1-line block ×3, first 2 shown]
	v_fma_f32 v18, v21, 2.0, -v19
	v_sub_f32_e32 v21, v10, v12
	v_add_u32_e32 v29, 0xaf, v0
	v_sub_f32_e32 v25, v22, v16
	v_fma_f32 v26, v20, 2.0, -v27
	v_fma_f32 v16, v23, 2.0, -v17
	v_sub_f32_e32 v23, v4, v6
	v_fma_f32 v20, v10, 2.0, -v21
	v_lshl_add_u32 v6, v29, 3, 0
	v_fma_f32 v24, v22, 2.0, -v25
	v_lshl_add_u32 v30, v0, 3, 0
	v_fma_f32 v22, v4, 2.0, -v23
	ds_write_b64 v6, v[20:21]
	s_waitcnt vmcnt(0)
	v_sub_f32_e32 v21, v14, v8
	v_lshlrev_b32_e32 v4, 2, v0
	v_add_u32_e32 v31, 0xa00, v30
	v_fma_f32 v20, v14, 2.0, -v21
	v_sub_u32_e32 v1, v30, v4
	ds_write2_b64 v31, v[24:25], v[26:27] offset0:30 offset1:205
	ds_write_b64 v30, v[22:23]
	ds_write_b64 v30, v[20:21] offset:5600
	s_waitcnt lgkmcnt(0)
	s_barrier
	v_add_u32_e32 v12, 0x500, v1
	v_add_u32_e32 v14, 0xa00, v1
	;; [unrolled: 1-line block ×4, first 2 shown]
	ds_read2_b32 v[27:28], v1 offset1:175
	ds_read2_b32 v[34:35], v12 offset0:30 offset1:205
	ds_read2_b32 v[36:37], v14 offset0:60 offset1:235
	;; [unrolled: 1-line block ×4, first 2 shown]
	s_waitcnt lgkmcnt(0)
	s_barrier
	ds_write2_b64 v31, v[16:17], v[18:19] offset0:30 offset1:205
	v_sub_f32_e32 v17, v11, v13
	v_fma_f32 v16, v11, 2.0, -v17
	ds_write_b64 v6, v[16:17]
	v_sub_f32_e32 v6, v5, v7
	v_fma_f32 v5, v5, 2.0, -v6
	v_sub_f32_e32 v16, v15, v9
	v_and_b32_e32 v7, 1, v0
	v_fma_f32 v15, v15, 2.0, -v16
	ds_write_b64 v30, v[5:6]
	ds_write_b64 v30, v[15:16] offset:5600
	v_lshlrev_b32_e32 v5, 5, v7
	v_and_b32_e32 v9, 1, v29
	s_waitcnt lgkmcnt(0)
	s_barrier
	global_load_dwordx4 v[15:18], v5, s[8:9]
	v_lshlrev_b32_e32 v6, 5, v9
	global_load_dwordx4 v[19:22], v6, s[8:9]
	global_load_dwordx4 v[23:26], v5, s[8:9] offset:16
	global_load_dwordx4 v[30:33], v6, s[8:9] offset:16
	ds_read2_b32 v[5:6], v12 offset0:30 offset1:205
	ds_read2_b32 v[42:43], v14 offset0:60 offset1:235
	;; [unrolled: 1-line block ×4, first 2 shown]
	s_movk_i32 s4, 0xcd
	s_waitcnt vmcnt(2) lgkmcnt(3)
	v_mul_f32_e32 v48, v6, v20
	v_mul_f32_e32 v11, v5, v16
	v_mul_f32_e32 v13, v34, v16
	v_mul_f32_e32 v49, v35, v20
	s_waitcnt lgkmcnt(2)
	v_mul_f32_e32 v20, v43, v22
	v_mul_f32_e32 v50, v37, v22
	;; [unrolled: 1-line block ×4, first 2 shown]
	s_waitcnt vmcnt(1) lgkmcnt(1)
	v_mul_f32_e32 v22, v44, v24
	s_waitcnt lgkmcnt(0)
	v_mul_f32_e32 v51, v46, v26
	v_fma_f32 v11, v34, v15, -v11
	v_fmac_f32_e32 v13, v5, v15
	v_fma_f32 v34, v37, v21, -v20
	v_fmac_f32_e32 v50, v43, v21
	v_mul_f32_e32 v21, v40, v26
	s_waitcnt vmcnt(0)
	v_mul_f32_e32 v15, v45, v31
	v_fma_f32 v5, v36, v17, -v16
	v_fmac_f32_e32 v18, v42, v17
	v_fma_f32 v17, v35, v19, -v48
	v_fmac_f32_e32 v49, v6, v19
	v_fma_f32 v6, v38, v23, -v22
	v_fma_f32 v19, v40, v25, -v51
	v_fmac_f32_e32 v21, v46, v25
	v_fma_f32 v25, v39, v30, -v15
	v_mul_f32_e32 v26, v39, v31
	v_mul_f32_e32 v15, v47, v33
	v_fmac_f32_e32 v26, v45, v30
	v_fma_f32 v30, v41, v32, -v15
	v_sub_f32_e32 v15, v11, v5
	v_sub_f32_e32 v16, v19, v6
	v_add_f32_e32 v20, v15, v16
	v_lshrrev_b32_e32 v15, 1, v0
	v_mul_u32_u24_e32 v15, 10, v15
	v_or_b32_e32 v7, v15, v7
	v_add_f32_e32 v15, v27, v11
	v_add_f32_e32 v15, v15, v5
	;; [unrolled: 1-line block ×3, first 2 shown]
	v_mul_f32_e32 v24, v38, v24
	v_add_f32_e32 v22, v15, v19
	v_add_f32_e32 v15, v5, v6
	v_fmac_f32_e32 v24, v44, v23
	v_mul_f32_e32 v31, v41, v33
	v_fma_f32 v23, -0.5, v15, v27
	v_fmac_f32_e32 v31, v47, v32
	v_sub_f32_e32 v32, v13, v21
	v_mov_b32_e32 v33, v23
	v_fmac_f32_e32 v33, 0x3f737871, v32
	v_sub_f32_e32 v35, v18, v24
	v_fmac_f32_e32 v33, 0x3f167918, v35
	v_fmac_f32_e32 v33, 0x3e9e377a, v20
	v_lshl_add_u32 v7, v7, 2, 0
	ds_read2_b32 v[15:16], v1 offset1:175
	s_waitcnt lgkmcnt(0)
	s_barrier
	ds_write2_b32 v7, v22, v33 offset1:2
	v_sub_f32_e32 v22, v5, v11
	v_sub_f32_e32 v33, v6, v19
	v_add_f32_e32 v22, v22, v33
	v_add_f32_e32 v33, v11, v19
	v_fma_f32 v27, -0.5, v33, v27
	v_mov_b32_e32 v33, v27
	v_fmac_f32_e32 v33, 0xbf737871, v35
	v_fmac_f32_e32 v27, 0x3f737871, v35
	;; [unrolled: 1-line block ×8, first 2 shown]
	ds_write2_b32 v7, v33, v27 offset0:4 offset1:6
	v_fmac_f32_e32 v23, 0x3e9e377a, v20
	v_add_f32_e32 v20, v34, v25
	v_add_f32_e32 v27, v17, v30
	v_fma_f32 v20, -0.5, v20, v28
	v_add_f32_e32 v22, v28, v17
	v_fmac_f32_e32 v28, -0.5, v27
	v_sub_f32_e32 v27, v34, v17
	v_sub_f32_e32 v32, v25, v30
	v_add_f32_e32 v27, v27, v32
	v_sub_f32_e32 v32, v50, v26
	v_mov_b32_e32 v33, v28
	ds_write_b32 v7, v23 offset:32
	v_lshrrev_b32_e32 v23, 1, v29
	v_fmac_f32_e32 v33, 0xbf737871, v32
	v_sub_f32_e32 v35, v49, v31
	v_fmac_f32_e32 v28, 0x3f737871, v32
	v_mul_u32_u24_e32 v23, 10, v23
	v_fmac_f32_e32 v33, 0x3f167918, v35
	v_fmac_f32_e32 v28, 0xbf167918, v35
	v_or_b32_e32 v9, v23, v9
	v_fmac_f32_e32 v33, 0x3e9e377a, v27
	v_fmac_f32_e32 v28, 0x3e9e377a, v27
	v_lshl_add_u32 v9, v9, 2, 0
	ds_write2_b32 v9, v33, v28 offset0:4 offset1:6
	v_sub_f32_e32 v33, v5, v6
	v_sub_f32_e32 v5, v13, v18
	;; [unrolled: 1-line block ×5, first 2 shown]
	v_add_f32_e32 v36, v5, v6
	v_add_f32_e32 v5, v15, v13
	;; [unrolled: 1-line block ×3, first 2 shown]
	v_mov_b32_e32 v27, v20
	v_add_f32_e32 v5, v5, v18
	v_fmac_f32_e32 v27, 0x3f737871, v35
	v_fmac_f32_e32 v20, 0xbf737871, v35
	v_add_f32_e32 v5, v5, v24
	v_fmac_f32_e32 v27, 0x3f167918, v32
	v_fmac_f32_e32 v20, 0xbf167918, v32
	v_add_f32_e32 v32, v5, v21
	v_add_f32_e32 v5, v18, v24
	v_sub_f32_e32 v18, v18, v13
	v_add_f32_e32 v13, v13, v21
	v_fma_f32 v35, -0.5, v5, v15
	v_fma_f32 v13, -0.5, v13, v15
	v_sub_f32_e32 v11, v11, v19
	v_mov_b32_e32 v37, v35
	v_mov_b32_e32 v15, v13
	v_add_f32_e32 v22, v22, v34
	v_fmac_f32_e32 v37, 0xbf737871, v11
	v_sub_f32_e32 v21, v24, v21
	v_fmac_f32_e32 v15, 0x3f737871, v33
	v_fmac_f32_e32 v13, 0xbf737871, v33
	;; [unrolled: 1-line block ×3, first 2 shown]
	v_add_f32_e32 v22, v22, v25
	v_fmac_f32_e32 v37, 0xbf167918, v33
	v_add_f32_e32 v18, v18, v21
	v_fmac_f32_e32 v15, 0xbf167918, v11
	v_fmac_f32_e32 v13, 0x3f167918, v11
	;; [unrolled: 1-line block ×3, first 2 shown]
	v_add_f32_e32 v22, v22, v30
	v_fmac_f32_e32 v27, 0x3e9e377a, v23
	v_fmac_f32_e32 v20, 0x3e9e377a, v23
	;; [unrolled: 1-line block ×6, first 2 shown]
	ds_write2_b32 v9, v22, v27 offset1:2
	ds_write_b32 v9, v20 offset:32
	s_waitcnt lgkmcnt(0)
	s_barrier
	ds_read2_b32 v[5:6], v1 offset1:175
	ds_read2_b32 v[19:20], v12 offset0:30 offset1:205
	ds_read2_b32 v[22:23], v14 offset0:60 offset1:235
	;; [unrolled: 1-line block ×4, first 2 shown]
	s_waitcnt lgkmcnt(0)
	s_barrier
	ds_write2_b32 v7, v32, v37 offset1:2
	ds_write2_b32 v7, v15, v13 offset0:4 offset1:6
	ds_write_b32 v7, v35 offset:32
	v_sub_f32_e32 v7, v17, v30
	v_add_f32_e32 v13, v50, v26
	v_add_f32_e32 v17, v49, v31
	v_fma_f32 v13, -0.5, v13, v16
	v_add_f32_e32 v15, v16, v49
	v_fmac_f32_e32 v16, -0.5, v17
	v_sub_f32_e32 v17, v50, v49
	v_sub_f32_e32 v18, v26, v31
	;; [unrolled: 1-line block ×3, first 2 shown]
	v_add_f32_e32 v17, v17, v18
	v_mov_b32_e32 v18, v16
	v_fmac_f32_e32 v18, 0x3f737871, v11
	v_fmac_f32_e32 v16, 0xbf737871, v11
	;; [unrolled: 1-line block ×6, first 2 shown]
	ds_write2_b32 v9, v18, v16 offset0:4 offset1:6
	v_sub_f32_e32 v16, v49, v50
	v_sub_f32_e32 v17, v31, v26
	v_add_f32_e32 v16, v16, v17
	v_mov_b32_e32 v17, v13
	v_fmac_f32_e32 v17, 0xbf737871, v7
	v_fmac_f32_e32 v13, 0x3f737871, v7
	v_mul_lo_u16_sdwa v7, v0, s4 dst_sel:DWORD dst_unused:UNUSED_PAD src0_sel:BYTE_0 src1_sel:DWORD
	v_add_f32_e32 v15, v15, v50
	v_lshrrev_b16_e32 v49, 11, v7
	v_add_f32_e32 v15, v15, v26
	v_fmac_f32_e32 v17, 0xbf167918, v11
	v_mul_lo_u16_e32 v7, 10, v49
	v_add_f32_e32 v15, v15, v31
	v_fmac_f32_e32 v13, 0x3f167918, v11
	v_fmac_f32_e32 v17, 0x3e9e377a, v16
	v_sub_u16_e32 v50, v0, v7
	v_mov_b32_e32 v7, 5
	s_mov_b32 s4, 0xcccd
	v_fmac_f32_e32 v13, 0x3e9e377a, v16
	ds_write2_b32 v9, v15, v17 offset1:2
	ds_write_b32 v9, v13 offset:32
	v_lshlrev_b32_sdwa v7, v7, v50 dst_sel:DWORD dst_unused:UNUSED_PAD src0_sel:DWORD src1_sel:BYTE_0
	v_mul_u32_u24_sdwa v9, v29, s4 dst_sel:DWORD dst_unused:UNUSED_PAD src0_sel:WORD_0 src1_sel:DWORD
	s_waitcnt lgkmcnt(0)
	s_barrier
	global_load_dwordx4 v[15:18], v7, s[8:9] offset:64
	v_lshrrev_b32_e32 v51, 19, v9
	v_mul_lo_u16_e32 v9, 10, v51
	v_sub_u16_e32 v52, v29, v9
	v_lshlrev_b32_e32 v9, 5, v52
	global_load_dwordx4 v[30:33], v9, s[8:9] offset:64
	global_load_dwordx4 v[37:40], v7, s[8:9] offset:80
	;; [unrolled: 1-line block ×3, first 2 shown]
	ds_read2_b32 v[11:12], v12 offset0:30 offset1:205
	ds_read2_b32 v[47:48], v14 offset0:60 offset1:235
	;; [unrolled: 1-line block ×3, first 2 shown]
	s_movk_i32 s4, 0x4b
	v_cmp_gt_u32_e32 vcc, s4, v0
	s_waitcnt vmcnt(3) lgkmcnt(2)
	v_mul_f32_e32 v7, v11, v16
	v_fma_f32 v34, v19, v15, -v7
	s_waitcnt lgkmcnt(1)
	v_mul_f32_e32 v7, v47, v18
	v_fma_f32 v35, v22, v17, -v7
	s_waitcnt vmcnt(2)
	v_mul_f32_e32 v7, v12, v31
	v_fma_f32 v24, v20, v30, -v7
	v_mul_f32_e32 v7, v48, v33
	v_fma_f32 v25, v23, v32, -v7
	ds_read2_b32 v[7:8], v8 offset0:56 offset1:231
	v_mul_f32_e32 v14, v23, v33
	v_mul_f32_e32 v21, v19, v16
	v_fmac_f32_e32 v14, v48, v32
	s_waitcnt vmcnt(1)
	v_mul_f32_e32 v32, v27, v38
	v_mul_f32_e32 v33, v45, v40
	v_fmac_f32_e32 v21, v11, v15
	s_waitcnt lgkmcnt(1)
	v_mul_f32_e32 v11, v9, v38
	v_fmac_f32_e32 v32, v9, v37
	s_waitcnt lgkmcnt(0)
	v_mul_f32_e32 v9, v7, v40
	v_fmac_f32_e32 v33, v7, v39
	s_waitcnt vmcnt(0)
	v_mul_f32_e32 v7, v10, v42
	v_fma_f32 v36, v27, v37, -v11
	v_fma_f32 v37, v45, v39, -v9
	v_fma_f32 v27, v28, v41, -v7
	v_mul_f32_e32 v7, v8, v44
	v_mul_f32_e32 v23, v46, v44
	;; [unrolled: 1-line block ×4, first 2 shown]
	v_fma_f32 v28, v46, v43, -v7
	v_fmac_f32_e32 v23, v8, v43
	v_mov_b32_e32 v7, 2
	v_sub_f32_e32 v8, v34, v35
	v_sub_f32_e32 v9, v37, v36
	v_lshlrev_b32_sdwa v7, v7, v50 dst_sel:DWORD dst_unused:UNUSED_PAD src0_sel:DWORD src1_sel:BYTE_0
	v_add_f32_e32 v9, v8, v9
	v_mul_u32_u24_e32 v8, 0xc8, v49
	v_add3_u32 v38, 0, v8, v7
	v_add_f32_e32 v7, v5, v34
	v_add_f32_e32 v7, v7, v35
	;; [unrolled: 1-line block ×3, first 2 shown]
	v_fmac_f32_e32 v22, v10, v41
	v_add_f32_e32 v10, v7, v37
	v_add_f32_e32 v7, v35, v36
	v_mul_f32_e32 v13, v20, v31
	v_fma_f32 v11, -0.5, v7, v5
	v_fmac_f32_e32 v26, v47, v17
	v_fmac_f32_e32 v13, v12, v30
	v_sub_f32_e32 v12, v21, v33
	v_mov_b32_e32 v15, v11
	v_fmac_f32_e32 v15, 0x3f737871, v12
	v_sub_f32_e32 v16, v26, v32
	v_fmac_f32_e32 v15, 0x3f167918, v16
	v_fmac_f32_e32 v15, 0x3e9e377a, v9
	ds_read2_b32 v[7:8], v1 offset1:175
	s_waitcnt lgkmcnt(0)
	s_barrier
	ds_write2_b32 v38, v10, v15 offset1:10
	v_sub_f32_e32 v10, v35, v34
	v_sub_f32_e32 v15, v36, v37
	v_add_f32_e32 v10, v10, v15
	v_add_f32_e32 v15, v34, v37
	v_fma_f32 v5, -0.5, v15, v5
	v_mov_b32_e32 v15, v5
	v_fmac_f32_e32 v15, 0xbf737871, v16
	v_fmac_f32_e32 v5, 0x3f737871, v16
	;; [unrolled: 1-line block ×8, first 2 shown]
	ds_write2_b32 v38, v15, v5 offset0:20 offset1:30
	v_fmac_f32_e32 v11, 0x3e9e377a, v9
	v_sub_f32_e32 v5, v24, v25
	v_sub_f32_e32 v9, v28, v27
	v_add_f32_e32 v5, v5, v9
	v_lshlrev_b32_e32 v9, 2, v52
	v_mul_u32_u24_e32 v10, 0xc8, v51
	v_add3_u32 v39, 0, v10, v9
	v_add_f32_e32 v9, v6, v24
	v_add_f32_e32 v9, v9, v25
	;; [unrolled: 1-line block ×5, first 2 shown]
	v_fma_f32 v9, -0.5, v9, v6
	ds_write_b32 v38, v11 offset:160
	v_sub_f32_e32 v11, v13, v23
	v_mov_b32_e32 v12, v9
	v_fmac_f32_e32 v12, 0x3f737871, v11
	v_sub_f32_e32 v15, v14, v22
	v_fmac_f32_e32 v9, 0xbf737871, v11
	v_fmac_f32_e32 v12, 0x3f167918, v15
	;; [unrolled: 1-line block ×5, first 2 shown]
	v_add_f32_e32 v5, v24, v28
	ds_write2_b32 v39, v10, v12 offset1:10
	v_fmac_f32_e32 v6, -0.5, v5
	v_sub_f32_e32 v5, v25, v24
	v_sub_f32_e32 v10, v27, v28
	v_add_f32_e32 v10, v5, v10
	v_mov_b32_e32 v5, v6
	v_fmac_f32_e32 v5, 0xbf737871, v15
	v_fmac_f32_e32 v6, 0x3f737871, v15
	;; [unrolled: 1-line block ×6, first 2 shown]
	ds_write2_b32 v39, v5, v6 offset0:20 offset1:30
	ds_write_b32 v39, v9 offset:160
	s_waitcnt lgkmcnt(0)
	s_barrier
	v_add_u32_e32 v40, 0x7c0, v1
	v_add_u32_e32 v41, 0xfa0, v1
	ds_read_b32 v31, v1 offset:6000
	ds_read2_b32 v[11:12], v1 offset1:250
	ds_read2_b32 v[17:18], v40 offset0:4 offset1:254
	ds_read2_b32 v[19:20], v41 offset1:250
                                        ; implicit-def: $vgpr30
                                        ; implicit-def: $vgpr15
	s_and_saveexec_b64 s[4:5], vcc
	s_cbranch_execz .LBB0_13
; %bb.12:
	v_add_u32_e32 v5, 0x2b0, v1
	v_add_u32_e32 v9, 0xa80, v1
	;; [unrolled: 1-line block ×3, first 2 shown]
	ds_read2_b32 v[5:6], v5 offset0:3 offset1:253
	ds_read2_b32 v[9:10], v9 offset0:3 offset1:253
	;; [unrolled: 1-line block ×3, first 2 shown]
	ds_read_b32 v30, v1 offset:6700
.LBB0_13:
	s_or_b64 exec, exec, s[4:5]
	v_add_f32_e32 v43, v26, v32
	v_fma_f32 v43, -0.5, v43, v7
	v_sub_f32_e32 v34, v34, v37
	v_mov_b32_e32 v37, v43
	v_fmac_f32_e32 v37, 0xbf737871, v34
	v_sub_f32_e32 v35, v35, v36
	v_sub_f32_e32 v36, v21, v26
	;; [unrolled: 1-line block ×3, first 2 shown]
	v_fmac_f32_e32 v43, 0x3f737871, v34
	v_fmac_f32_e32 v37, 0xbf167918, v35
	v_add_f32_e32 v36, v36, v44
	v_fmac_f32_e32 v43, 0x3f167918, v35
	v_fmac_f32_e32 v37, 0x3e9e377a, v36
	;; [unrolled: 1-line block ×3, first 2 shown]
	v_add_f32_e32 v36, v21, v33
	v_fma_f32 v36, -0.5, v36, v7
	v_mov_b32_e32 v44, v36
	v_add_f32_e32 v42, v7, v21
	v_fmac_f32_e32 v44, 0x3f737871, v35
	v_sub_f32_e32 v7, v26, v21
	v_sub_f32_e32 v21, v32, v33
	v_fmac_f32_e32 v36, 0xbf737871, v35
	v_fmac_f32_e32 v44, 0xbf167918, v34
	v_add_f32_e32 v7, v7, v21
	v_fmac_f32_e32 v36, 0x3f167918, v34
	v_fmac_f32_e32 v44, 0x3e9e377a, v7
	v_fmac_f32_e32 v36, 0x3e9e377a, v7
	v_add_f32_e32 v7, v8, v13
	v_add_f32_e32 v7, v7, v14
	v_add_f32_e32 v7, v7, v22
	v_add_f32_e32 v42, v42, v26
	v_add_f32_e32 v26, v7, v23
	v_add_f32_e32 v7, v14, v22
	v_fma_f32 v21, -0.5, v7, v8
	v_sub_f32_e32 v24, v24, v28
	v_mov_b32_e32 v28, v21
	v_fmac_f32_e32 v28, 0xbf737871, v24
	v_sub_f32_e32 v25, v25, v27
	v_sub_f32_e32 v7, v13, v14
	;; [unrolled: 1-line block ×3, first 2 shown]
	v_fmac_f32_e32 v21, 0x3f737871, v24
	v_fmac_f32_e32 v28, 0xbf167918, v25
	v_add_f32_e32 v7, v7, v27
	v_fmac_f32_e32 v21, 0x3f167918, v25
	v_fmac_f32_e32 v28, 0x3e9e377a, v7
	;; [unrolled: 1-line block ×3, first 2 shown]
	v_add_f32_e32 v7, v13, v23
	v_fmac_f32_e32 v8, -0.5, v7
	v_mov_b32_e32 v7, v8
	v_add_f32_e32 v42, v42, v32
	v_fmac_f32_e32 v7, 0x3f737871, v25
	v_sub_f32_e32 v13, v14, v13
	v_sub_f32_e32 v14, v22, v23
	v_fmac_f32_e32 v8, 0xbf737871, v25
	v_add_f32_e32 v42, v42, v33
	v_fmac_f32_e32 v7, 0xbf167918, v24
	v_add_f32_e32 v13, v13, v14
	v_fmac_f32_e32 v8, 0x3f167918, v24
	v_fmac_f32_e32 v7, 0x3e9e377a, v13
	;; [unrolled: 1-line block ×3, first 2 shown]
	s_waitcnt lgkmcnt(0)
	s_barrier
	ds_write2_b32 v38, v42, v37 offset1:10
	ds_write2_b32 v38, v44, v36 offset0:20 offset1:30
	ds_write_b32 v38, v43 offset:160
	ds_write2_b32 v39, v26, v28 offset1:10
	ds_write2_b32 v39, v7, v8 offset0:20 offset1:30
	ds_write_b32 v39, v21 offset:160
	s_waitcnt lgkmcnt(0)
	s_barrier
	ds_read2_b32 v[13:14], v1 offset1:250
	ds_read2_b32 v[23:24], v40 offset0:4 offset1:254
	ds_read2_b32 v[27:28], v41 offset1:250
	ds_read_b32 v34, v1 offset:6000
                                        ; implicit-def: $vgpr25
                                        ; implicit-def: $vgpr33
	s_and_saveexec_b64 s[4:5], vcc
	s_cbranch_execz .LBB0_15
; %bb.14:
	v_add_u32_e32 v7, 0x2b0, v1
	v_add_u32_e32 v21, 0xa80, v1
	;; [unrolled: 1-line block ×3, first 2 shown]
	ds_read2_b32 v[7:8], v7 offset0:3 offset1:253
	ds_read2_b32 v[21:22], v21 offset0:3 offset1:253
	;; [unrolled: 1-line block ×3, first 2 shown]
	ds_read_b32 v33, v1 offset:6700
.LBB0_15:
	s_or_b64 exec, exec, s[4:5]
	v_mov_b32_e32 v32, 41
	v_mul_lo_u16_sdwa v35, v0, v32 dst_sel:DWORD dst_unused:UNUSED_PAD src0_sel:BYTE_0 src1_sel:DWORD
	v_lshrrev_b16_e32 v35, 11, v35
	v_mul_lo_u16_e32 v36, 50, v35
	v_sub_u16_e32 v36, v0, v36
	v_mov_b32_e32 v37, 6
	v_mul_u32_u24_sdwa v37, v36, v37 dst_sel:DWORD dst_unused:UNUSED_PAD src0_sel:BYTE_0 src1_sel:DWORD
	v_lshlrev_b32_e32 v37, 3, v37
	v_lshrrev_b16_e32 v42, 1, v29
	global_load_dwordx4 v[38:41], v37, s[8:9] offset:416
	global_load_dwordx4 v[44:47], v37, s[8:9] offset:400
	;; [unrolled: 1-line block ×3, first 2 shown]
	v_mul_u32_u24_e32 v37, 0x147b, v42
	v_lshrrev_b32_e32 v37, 17, v37
	v_mul_lo_u16_e32 v37, 50, v37
	v_sub_u16_e32 v64, v29, v37
	v_mul_u32_u24_e32 v37, 6, v64
	v_lshlrev_b32_e32 v37, 3, v37
	global_load_dwordx4 v[52:55], v37, s[8:9] offset:416
	global_load_dwordx4 v[56:59], v37, s[8:9] offset:400
	;; [unrolled: 1-line block ×3, first 2 shown]
	v_mov_b32_e32 v37, 2
	v_mul_u32_u24_e32 v35, 0x578, v35
	v_lshlrev_b32_sdwa v36, v37, v36 dst_sel:DWORD dst_unused:UNUSED_PAD src0_sel:DWORD src1_sel:BYTE_0
	v_add3_u32 v35, 0, v35, v36
	s_mov_b32 s6, 0xbf3bfb3b
	s_mov_b32 s7, 0x3f5ff5aa
	s_waitcnt vmcnt(0) lgkmcnt(0)
	s_barrier
	s_mov_b32 s11, 0x3f3bfb3b
	s_mov_b32 s10, 0xbeae86e6
	v_mul_f32_e32 v37, v34, v41
	v_mul_f32_e32 v36, v31, v41
	v_fma_f32 v31, v31, v40, -v37
	v_mul_f32_e32 v41, v28, v39
	v_mul_f32_e32 v37, v20, v39
	v_fmac_f32_e32 v36, v34, v40
	v_fma_f32 v34, v20, v38, -v41
	v_fmac_f32_e32 v37, v28, v38
	v_mul_f32_e32 v20, v27, v47
	v_mul_f32_e32 v38, v19, v47
	v_fma_f32 v40, v19, v46, -v20
	v_mul_f32_e32 v20, v23, v51
	v_mul_f32_e32 v41, v17, v51
	v_fmac_f32_e32 v38, v27, v46
	v_mul_f32_e32 v27, v14, v49
	v_mul_f32_e32 v43, v12, v49
	;; [unrolled: 1-line block ×4, first 2 shown]
	v_fma_f32 v17, v17, v50, -v20
	v_fmac_f32_e32 v41, v23, v50
	v_mul_f32_e32 v23, v10, v57
	v_fma_f32 v12, v12, v48, -v27
	v_fmac_f32_e32 v43, v14, v48
	v_mul_f32_e32 v14, v21, v63
	v_mul_f32_e32 v27, v6, v61
	v_fma_f32 v42, v18, v44, -v28
	v_fmac_f32_e32 v39, v24, v44
	v_mul_f32_e32 v20, v15, v59
	v_mul_f32_e32 v46, v22, v57
	;; [unrolled: 1-line block ×4, first 2 shown]
	v_fmac_f32_e32 v23, v22, v56
	v_fma_f32 v22, v9, v62, -v14
	v_fmac_f32_e32 v27, v8, v60
	v_add_f32_e32 v8, v12, v31
	v_add_f32_e32 v9, v17, v34
	v_mul_f32_e32 v28, v33, v55
	v_mul_f32_e32 v19, v30, v55
	;; [unrolled: 1-line block ×5, first 2 shown]
	v_fmac_f32_e32 v20, v25, v58
	v_fma_f32 v25, v10, v56, -v46
	v_fmac_f32_e32 v24, v21, v62
	v_add_f32_e32 v10, v42, v40
	v_add_f32_e32 v21, v9, v8
	v_fma_f32 v30, v30, v54, -v28
	v_fmac_f32_e32 v19, v33, v54
	v_fma_f32 v28, v16, v52, -v44
	v_fmac_f32_e32 v18, v26, v52
	v_fma_f32 v26, v15, v58, -v45
	v_sub_f32_e32 v15, v41, v37
	v_sub_f32_e32 v16, v38, v39
	;; [unrolled: 1-line block ×5, first 2 shown]
	v_add_f32_e32 v10, v10, v21
	v_sub_f32_e32 v14, v43, v36
	v_add_f32_e32 v44, v16, v15
	v_add_f32_e32 v11, v11, v10
	v_sub_f32_e32 v45, v16, v15
	v_sub_f32_e32 v16, v14, v16
	;; [unrolled: 1-line block ×3, first 2 shown]
	v_add_f32_e32 v14, v44, v14
	v_mov_b32_e32 v44, v11
	v_mul_f32_e32 v8, 0x3f4a47b2, v8
	v_fmac_f32_e32 v44, 0xbf955555, v10
	v_mul_f32_e32 v10, 0xbf08b237, v45
	v_fma_f32 v21, v33, s6, -v8
	v_fmac_f32_e32 v8, 0x3d64c772, v9
	v_fma_f32 v45, v15, s7, -v10
	v_fmac_f32_e32 v10, 0x3eae86e6, v16
	v_add_f32_e32 v8, v8, v44
	v_fmac_f32_e32 v10, 0x3ee1c552, v14
	v_add_f32_e32 v46, v10, v8
	ds_write2_b32 v35, v11, v46 offset1:50
	v_mul_f32_e32 v9, 0x3d64c772, v9
	v_mul_f32_e32 v11, 0x3f5ff5aa, v15
	v_fma_f32 v9, v33, s11, -v9
	v_fma_f32 v11, v16, s10, -v11
	v_add_f32_e32 v9, v9, v44
	v_add_f32_e32 v15, v21, v44
	v_fmac_f32_e32 v45, 0x3ee1c552, v14
	v_fmac_f32_e32 v11, 0x3ee1c552, v14
	v_fma_f32 v6, v6, v60, -v47
	v_sub_f32_e32 v14, v9, v45
	v_add_f32_e32 v16, v11, v15
	v_add_f32_e32 v9, v45, v9
	v_sub_f32_e32 v11, v15, v11
	v_sub_f32_e32 v8, v8, v10
	v_lshlrev_b32_e32 v21, 2, v64
	ds_write2_b32 v35, v16, v14 offset0:100 offset1:150
	ds_write2_b32 v35, v9, v11 offset0:200 offset1:250
	ds_write_b32 v35, v8 offset:1200
	s_and_saveexec_b64 s[4:5], vcc
	s_cbranch_execz .LBB0_17
; %bb.16:
	v_add_f32_e32 v8, v6, v30
	v_add_f32_e32 v9, v25, v26
	v_sub_f32_e32 v10, v8, v9
	v_mul_f32_e32 v10, 0x3f4a47b2, v10
	v_add_f32_e32 v11, v22, v28
	v_sub_f32_e32 v14, v9, v11
	v_mov_b32_e32 v16, v10
	v_mul_f32_e32 v15, 0x3d64c772, v14
	v_fmac_f32_e32 v16, 0x3d64c772, v14
	v_add_f32_e32 v14, v11, v8
	v_add_f32_e32 v9, v9, v14
	;; [unrolled: 1-line block ×3, first 2 shown]
	v_mov_b32_e32 v14, v5
	v_fmac_f32_e32 v14, 0xbf955555, v9
	v_sub_f32_e32 v33, v20, v23
	v_sub_f32_e32 v45, v24, v18
	v_add_f32_e32 v9, v16, v14
	v_sub_f32_e32 v16, v27, v19
	v_sub_f32_e32 v46, v33, v45
	;; [unrolled: 1-line block ×3, first 2 shown]
	v_mul_f32_e32 v46, 0xbf08b237, v46
	v_add_f32_e32 v33, v33, v45
	v_sub_f32_e32 v8, v11, v8
	v_sub_f32_e32 v11, v45, v16
	v_add_f32_e32 v33, v33, v16
	v_fma_f32 v10, v8, s6, -v10
	v_mul_f32_e32 v16, 0x3f5ff5aa, v11
	v_fma_f32 v11, v11, s7, -v46
	v_fma_f32 v8, v8, s11, -v15
	v_fmac_f32_e32 v11, 0x3ee1c552, v33
	v_add_f32_e32 v8, v8, v14
	v_mov_b32_e32 v47, v46
	v_add_f32_e32 v10, v10, v14
	v_add_f32_e32 v14, v11, v8
	v_sub_f32_e32 v8, v8, v11
	v_mul_lo_u16_sdwa v11, v29, v32 dst_sel:DWORD dst_unused:UNUSED_PAD src0_sel:BYTE_0 src1_sel:DWORD
	v_fmac_f32_e32 v47, 0x3eae86e6, v44
	v_lshrrev_b16_e32 v11, 11, v11
	v_fmac_f32_e32 v47, 0x3ee1c552, v33
	v_fma_f32 v16, v44, s10, -v16
	v_mul_u32_u24_e32 v11, 0x578, v11
	v_sub_f32_e32 v48, v9, v47
	v_fmac_f32_e32 v16, 0x3ee1c552, v33
	v_add_f32_e32 v9, v47, v9
	v_add3_u32 v11, 0, v11, v21
	v_sub_f32_e32 v44, v10, v16
	v_add_f32_e32 v10, v16, v10
	ds_write2_b32 v11, v5, v9 offset1:50
	ds_write2_b32 v11, v10, v8 offset0:100 offset1:150
	ds_write2_b32 v11, v14, v44 offset0:200 offset1:250
	ds_write_b32 v11, v48 offset:1200
.LBB0_17:
	s_or_b64 exec, exec, s[4:5]
	v_add_f32_e32 v5, v43, v36
	v_add_f32_e32 v9, v41, v37
	;; [unrolled: 1-line block ×4, first 2 shown]
	v_sub_f32_e32 v8, v12, v31
	v_sub_f32_e32 v10, v17, v34
	;; [unrolled: 1-line block ×6, first 2 shown]
	v_add_f32_e32 v11, v11, v14
	v_add_f32_e32 v16, v12, v10
	v_sub_f32_e32 v17, v12, v10
	v_sub_f32_e32 v10, v10, v8
	v_add_f32_e32 v31, v13, v11
	v_sub_f32_e32 v12, v8, v12
	v_add_f32_e32 v8, v16, v8
	v_mul_f32_e32 v5, 0x3f4a47b2, v5
	v_mul_f32_e32 v13, 0x3d64c772, v9
	;; [unrolled: 1-line block ×4, first 2 shown]
	v_mov_b32_e32 v17, v31
	v_fmac_f32_e32 v17, 0xbf955555, v11
	v_fma_f32 v11, v15, s11, -v13
	v_fma_f32 v13, v15, s6, -v5
	v_fmac_f32_e32 v5, 0x3d64c772, v9
	v_fma_f32 v9, v10, s7, -v14
	v_fma_f32 v10, v12, s10, -v16
	v_fmac_f32_e32 v14, 0x3eae86e6, v12
	v_add_f32_e32 v12, v13, v17
	v_fmac_f32_e32 v10, 0x3ee1c552, v8
	v_add_f32_e32 v5, v5, v17
	v_fmac_f32_e32 v14, 0x3ee1c552, v8
	v_sub_f32_e32 v33, v12, v10
	v_add_f32_e32 v37, v10, v12
	v_add_u32_e32 v12, 0xa00, v1
	v_sub_f32_e32 v32, v5, v14
	v_add_f32_e32 v5, v14, v5
	s_waitcnt lgkmcnt(0)
	s_barrier
	ds_read2_b32 v[14:15], v12 offset0:60 offset1:235
	v_add_u32_e32 v12, 0x1000, v1
	v_add_f32_e32 v11, v11, v17
	v_fmac_f32_e32 v9, 0x3ee1c552, v8
	v_add_u32_e32 v10, 0x500, v1
	ds_read2_b32 v[16:17], v12 offset0:26 offset1:201
	v_add_u32_e32 v12, 0x1500, v1
	v_add_f32_e32 v34, v9, v11
	v_sub_f32_e32 v36, v11, v9
	ds_read2_b32 v[8:9], v1 offset1:175
	ds_read2_b32 v[10:11], v10 offset0:30 offset1:205
	ds_read2_b32 v[12:13], v12 offset0:56 offset1:231
	s_waitcnt lgkmcnt(0)
	s_barrier
	ds_write2_b32 v35, v31, v32 offset1:50
	ds_write2_b32 v35, v33, v34 offset0:100 offset1:150
	ds_write2_b32 v35, v36, v37 offset0:200 offset1:250
	ds_write_b32 v35, v5 offset:1200
	s_and_saveexec_b64 s[4:5], vcc
	s_cbranch_execz .LBB0_19
; %bb.18:
	v_add_f32_e32 v5, v27, v19
	v_add_f32_e32 v18, v24, v18
	;; [unrolled: 1-line block ×4, first 2 shown]
	v_sub_f32_e32 v24, v18, v5
	v_sub_f32_e32 v5, v5, v20
	;; [unrolled: 1-line block ×3, first 2 shown]
	v_add_f32_e32 v20, v20, v23
	v_sub_f32_e32 v19, v22, v28
	v_sub_f32_e32 v22, v26, v25
	v_add_f32_e32 v7, v7, v20
	v_sub_f32_e32 v6, v6, v30
	v_add_f32_e32 v25, v22, v19
	v_sub_f32_e32 v26, v22, v19
	v_mul_f32_e32 v23, 0x3d64c772, v18
	v_mov_b32_e32 v27, v7
	s_mov_b32 s7, 0x3f3bfb3b
	v_sub_f32_e32 v22, v6, v22
	v_sub_f32_e32 v19, v19, v6
	v_add_f32_e32 v6, v25, v6
	v_mul_f32_e32 v5, 0x3f4a47b2, v5
	v_mul_f32_e32 v25, 0xbf08b237, v26
	s_mov_b32 s6, 0x3f5ff5aa
	v_fmac_f32_e32 v27, 0xbf955555, v20
	v_fma_f32 v20, v24, s7, -v23
	s_mov_b32 s7, 0xbf3bfb3b
	v_fma_f32 v23, v24, s7, -v5
	v_fmac_f32_e32 v5, 0x3d64c772, v18
	v_fma_f32 v18, v19, s6, -v25
	v_add_f32_e32 v20, v20, v27
	v_fmac_f32_e32 v18, 0x3ee1c552, v6
	v_add_f32_e32 v24, v18, v20
	v_sub_f32_e32 v18, v20, v18
	v_mov_b32_e32 v20, 41
	v_mul_lo_u16_sdwa v20, v29, v20 dst_sel:DWORD dst_unused:UNUSED_PAD src0_sel:BYTE_0 src1_sel:DWORD
	v_mul_f32_e32 v26, 0x3f5ff5aa, v19
	v_fmac_f32_e32 v25, 0x3eae86e6, v22
	s_mov_b32 s6, 0xbeae86e6
	v_lshrrev_b16_e32 v20, 11, v20
	v_fma_f32 v19, v22, s6, -v26
	v_add_f32_e32 v5, v5, v27
	v_fmac_f32_e32 v25, 0x3ee1c552, v6
	v_mul_u32_u24_e32 v20, 0x578, v20
	v_add_f32_e32 v22, v23, v27
	v_fmac_f32_e32 v19, 0x3ee1c552, v6
	v_sub_f32_e32 v6, v5, v25
	v_add3_u32 v20, 0, v20, v21
	v_sub_f32_e32 v23, v22, v19
	v_add_f32_e32 v19, v19, v22
	v_add_f32_e32 v5, v25, v5
	ds_write2_b32 v20, v7, v6 offset1:50
	ds_write2_b32 v20, v23, v24 offset0:100 offset1:150
	ds_write2_b32 v20, v18, v19 offset0:200 offset1:250
	ds_write_b32 v20, v5 offset:1200
.LBB0_19:
	s_or_b64 exec, exec, s[4:5]
	s_waitcnt lgkmcnt(0)
	s_barrier
	s_and_saveexec_b64 s[4:5], s[0:1]
	s_cbranch_execz .LBB0_21
; %bb.20:
	v_lshlrev_b32_e32 v25, 2, v29
	v_mov_b32_e32 v26, 0
	v_lshlrev_b64 v[5:6], 3, v[25:26]
	v_mov_b32_e32 v7, s9
	v_add_co_u32_e32 v5, vcc, s8, v5
	v_addc_co_u32_e32 v6, vcc, v7, v6, vcc
	global_load_dwordx4 v[18:21], v[5:6], off offset:2784
	global_load_dwordx4 v[22:25], v[5:6], off offset:2800
	v_add_u32_e32 v5, 0x500, v1
	ds_read2_b32 v[27:28], v1 offset1:175
	ds_read2_b32 v[34:35], v5 offset0:30 offset1:205
	v_mov_b32_e32 v5, v26
	v_lshlrev_b64 v[4:5], 3, v[4:5]
	v_add_u32_e32 v38, 0xa00, v1
	v_add_co_u32_e32 v36, vcc, s8, v4
	v_addc_co_u32_e32 v37, vcc, v7, v5, vcc
	global_load_dwordx4 v[4:7], v[36:37], off offset:2800
	global_load_dwordx4 v[30:33], v[36:37], off offset:2784
	v_add_u32_e32 v39, 0x1500, v1
	v_add_u32_e32 v40, 0x1000, v1
	ds_read2_b32 v[36:37], v38 offset0:60 offset1:235
	ds_read2_b32 v[38:39], v39 offset0:56 offset1:231
	;; [unrolled: 1-line block ×3, first 2 shown]
	v_add_co_u32_e32 v2, vcc, s2, v2
	s_movk_i32 s0, 0x1000
	s_mov_b32 s2, 0x5d9f7391
	s_movk_i32 s1, 0x2000
	s_waitcnt vmcnt(3)
	v_mul_f32_e32 v1, v11, v19
	v_mul_f32_e32 v42, v15, v21
	s_waitcnt vmcnt(2)
	v_mul_f32_e32 v43, v13, v25
	v_mul_f32_e32 v44, v17, v23
	s_waitcnt lgkmcnt(0)
	v_mul_f32_e32 v23, v41, v23
	v_fmac_f32_e32 v1, v35, v18
	v_fmac_f32_e32 v42, v37, v20
	;; [unrolled: 1-line block ×3, first 2 shown]
	v_mul_f32_e32 v21, v37, v21
	v_mul_f32_e32 v19, v35, v19
	;; [unrolled: 1-line block ×3, first 2 shown]
	v_fma_f32 v35, v17, v22, -v23
	v_sub_f32_e32 v17, v1, v42
	v_sub_f32_e32 v39, v1, v43
	;; [unrolled: 1-line block ×3, first 2 shown]
	v_add_f32_e32 v45, v1, v43
	v_add_f32_e32 v1, v1, v28
	v_fmac_f32_e32 v44, v41, v22
	v_fma_f32 v15, v15, v20, -v21
	v_add_f32_e32 v1, v42, v1
	v_fma_f32 v11, v11, v18, -v19
	v_fma_f32 v13, v13, v24, -v25
	v_sub_f32_e32 v18, v43, v44
	v_add_f32_e32 v19, v42, v44
	v_add_f32_e32 v22, v15, v35
	;; [unrolled: 1-line block ×3, first 2 shown]
	v_sub_f32_e32 v20, v11, v15
	v_sub_f32_e32 v21, v13, v35
	;; [unrolled: 1-line block ×3, first 2 shown]
	v_add_f32_e32 v48, v11, v13
	v_add_f32_e32 v49, v17, v18
	v_fma_f32 v18, -0.5, v19, v28
	v_fma_f32 v17, -0.5, v22, v9
	v_add_f32_e32 v42, v43, v1
	v_add_f32_e32 v1, v9, v11
	v_sub_f32_e32 v37, v11, v13
	v_sub_f32_e32 v24, v44, v43
	v_add_f32_e32 v50, v20, v21
	v_fma_f32 v20, -0.5, v45, v28
	v_fma_f32 v19, -0.5, v48, v9
	v_mov_b32_e32 v22, v18
	v_mov_b32_e32 v21, v17
	v_add_f32_e32 v1, v1, v15
	v_sub_f32_e32 v25, v15, v35
	v_add_f32_e32 v51, v23, v24
	v_mov_b32_e32 v24, v20
	v_mov_b32_e32 v23, v19
	v_fmac_f32_e32 v18, 0xbf737871, v37
	v_fmac_f32_e32 v22, 0x3f737871, v37
	v_fmac_f32_e32 v21, 0xbf737871, v39
	v_fmac_f32_e32 v17, 0x3f737871, v39
	v_add_f32_e32 v1, v1, v35
	v_sub_f32_e32 v46, v15, v11
	v_sub_f32_e32 v47, v35, v13
	v_fmac_f32_e32 v20, 0x3f737871, v25
	v_fmac_f32_e32 v19, 0xbf737871, v41
	;; [unrolled: 1-line block ×8, first 2 shown]
	v_add_f32_e32 v41, v13, v1
	s_waitcnt vmcnt(0)
	v_mul_f32_e32 v1, v10, v31
	v_mul_f32_e32 v13, v14, v33
	;; [unrolled: 1-line block ×4, first 2 shown]
	v_fmac_f32_e32 v1, v34, v30
	v_fmac_f32_e32 v13, v36, v32
	;; [unrolled: 1-line block ×4, first 2 shown]
	v_mul_f32_e32 v5, v40, v5
	v_sub_f32_e32 v9, v1, v13
	v_sub_f32_e32 v11, v15, v25
	v_fma_f32 v16, v16, v4, -v5
	v_mul_f32_e32 v4, v34, v31
	v_add_f32_e32 v28, v9, v11
	v_mul_f32_e32 v9, v36, v33
	v_fma_f32 v30, v10, v30, -v4
	v_mul_f32_e32 v4, v38, v7
	v_fma_f32 v32, v14, v32, -v9
	v_fma_f32 v31, v12, v6, -v4
	v_add_f32_e32 v4, v13, v25
	v_fma_f32 v5, -0.5, v4, v27
	v_sub_f32_e32 v4, v30, v32
	v_sub_f32_e32 v6, v31, v16
	v_add_f32_e32 v14, v4, v6
	v_add_f32_e32 v4, v32, v16
	v_fma_f32 v4, -0.5, v4, v8
	v_sub_f32_e32 v9, v13, v1
	v_sub_f32_e32 v10, v25, v15
	v_fmac_f32_e32 v20, 0xbf167918, v37
	v_fmac_f32_e32 v24, 0x3f167918, v37
	v_sub_f32_e32 v35, v1, v15
	v_mov_b32_e32 v6, v4
	v_add_f32_e32 v37, v9, v10
	v_add_f32_e32 v9, v1, v15
	;; [unrolled: 1-line block ×3, first 2 shown]
	v_fmac_f32_e32 v6, 0xbf737871, v35
	v_sub_f32_e32 v36, v13, v25
	v_fmac_f32_e32 v4, 0x3f737871, v35
	v_add_f32_e32 v1, v13, v1
	v_fmac_f32_e32 v6, 0xbf167918, v36
	v_fmac_f32_e32 v4, 0x3f167918, v36
	v_add_f32_e32 v1, v25, v1
	v_fmac_f32_e32 v6, 0x3e9e377a, v14
	v_fmac_f32_e32 v4, 0x3e9e377a, v14
	v_add_f32_e32 v14, v15, v1
	v_add_f32_e32 v1, v8, v30
	;; [unrolled: 1-line block ×3, first 2 shown]
	v_fma_f32 v10, -0.5, v9, v27
	v_sub_f32_e32 v9, v32, v30
	v_sub_f32_e32 v11, v16, v31
	v_add_f32_e32 v1, v1, v16
	v_add_f32_e32 v38, v9, v11
	;; [unrolled: 1-line block ×4, first 2 shown]
	v_mov_b32_e32 v1, v26
	v_fma_f32 v9, -0.5, v9, v8
	v_mov_b32_e32 v8, s3
	v_lshlrev_b64 v[0:1], 3, v[0:1]
	v_sub_f32_e32 v34, v30, v31
	v_addc_co_u32_e32 v3, vcc, v8, v3, vcc
	v_sub_f32_e32 v33, v32, v16
	v_mov_b32_e32 v7, v5
	v_mov_b32_e32 v12, v10
	;; [unrolled: 1-line block ×3, first 2 shown]
	v_fmac_f32_e32 v5, 0xbf737871, v34
	v_add_co_u32_e32 v0, vcc, v2, v0
	v_fmac_f32_e32 v12, 0x3f737871, v33
	v_fmac_f32_e32 v11, 0xbf737871, v36
	;; [unrolled: 1-line block ×3, first 2 shown]
	v_addc_co_u32_e32 v1, vcc, v3, v1, vcc
	v_fmac_f32_e32 v12, 0xbf167918, v34
	v_fmac_f32_e32 v11, 0x3f167918, v35
	;; [unrolled: 1-line block ×3, first 2 shown]
	global_store_dwordx2 v[0:1], v[13:14], off
	global_store_dwordx2 v[0:1], v[4:5], off offset:2800
	v_add_co_u32_e32 v2, vcc, s0, v0
	v_mul_hi_u32 v4, v29, s2
	v_fmac_f32_e32 v12, 0x3e9e377a, v37
	v_fmac_f32_e32 v11, 0x3e9e377a, v38
	;; [unrolled: 1-line block ×4, first 2 shown]
	v_addc_co_u32_e32 v3, vcc, 0, v1, vcc
	v_fmac_f32_e32 v7, 0x3f737871, v34
	v_fmac_f32_e32 v10, 0x3f167918, v34
	;; [unrolled: 1-line block ×3, first 2 shown]
	global_store_dwordx2 v[2:3], v[11:12], off offset:1504
	v_add_co_u32_e32 v2, vcc, s1, v0
	v_fmac_f32_e32 v7, 0x3f167918, v33
	v_fmac_f32_e32 v10, 0x3e9e377a, v37
	;; [unrolled: 1-line block ×3, first 2 shown]
	v_addc_co_u32_e32 v3, vcc, 0, v1, vcc
	v_fmac_f32_e32 v7, 0x3e9e377a, v28
	global_store_dwordx2 v[2:3], v[9:10], off offset:208
	global_store_dwordx2 v[2:3], v[6:7], off offset:3008
	v_lshrrev_b32_e32 v2, 7, v4
	v_mul_u32_u24_e32 v25, 0x578, v2
	v_lshlrev_b64 v[2:3], 3, v[25:26]
	s_movk_i32 s1, 0x578
	v_add_co_u32_e32 v0, vcc, v0, v2
	v_addc_co_u32_e32 v1, vcc, v1, v3, vcc
	v_add_co_u32_e32 v2, vcc, s1, v0
	v_addc_co_u32_e32 v3, vcc, 0, v1, vcc
	v_add_f32_e32 v45, v46, v47
	v_fmac_f32_e32 v19, 0x3f167918, v39
	v_fmac_f32_e32 v18, 0x3e9e377a, v49
	;; [unrolled: 1-line block ×3, first 2 shown]
	global_store_dwordx2 v[0:1], v[41:42], off offset:1400
	global_store_dwordx2 v[2:3], v[17:18], off offset:2800
	v_add_co_u32_e32 v2, vcc, s0, v0
	v_fmac_f32_e32 v20, 0x3e9e377a, v51
	v_fmac_f32_e32 v19, 0x3e9e377a, v45
	v_addc_co_u32_e32 v3, vcc, 0, v1, vcc
	global_store_dwordx2 v[2:3], v[19:20], off offset:2904
	v_add_co_u32_e32 v2, vcc, 0x2000, v0
	v_addc_co_u32_e32 v3, vcc, 0, v1, vcc
	v_fmac_f32_e32 v23, 0xbf167918, v39
	v_add_co_u32_e32 v0, vcc, 0x3000, v0
	v_fmac_f32_e32 v22, 0x3e9e377a, v49
	v_fmac_f32_e32 v21, 0x3e9e377a, v50
	;; [unrolled: 1-line block ×4, first 2 shown]
	v_addc_co_u32_e32 v1, vcc, 0, v1, vcc
	global_store_dwordx2 v[2:3], v[23:24], off offset:1608
	global_store_dwordx2 v[0:1], v[21:22], off offset:312
.LBB0_21:
	s_endpgm
	.section	.rodata,"a",@progbits
	.p2align	6, 0x0
	.amdhsa_kernel fft_rtc_fwd_len1750_factors_2_5_5_7_5_wgs_175_tpt_175_halfLds_sp_ip_CI_unitstride_sbrr_dirReg
		.amdhsa_group_segment_fixed_size 0
		.amdhsa_private_segment_fixed_size 0
		.amdhsa_kernarg_size 88
		.amdhsa_user_sgpr_count 6
		.amdhsa_user_sgpr_private_segment_buffer 1
		.amdhsa_user_sgpr_dispatch_ptr 0
		.amdhsa_user_sgpr_queue_ptr 0
		.amdhsa_user_sgpr_kernarg_segment_ptr 1
		.amdhsa_user_sgpr_dispatch_id 0
		.amdhsa_user_sgpr_flat_scratch_init 0
		.amdhsa_user_sgpr_private_segment_size 0
		.amdhsa_uses_dynamic_stack 0
		.amdhsa_system_sgpr_private_segment_wavefront_offset 0
		.amdhsa_system_sgpr_workgroup_id_x 1
		.amdhsa_system_sgpr_workgroup_id_y 0
		.amdhsa_system_sgpr_workgroup_id_z 0
		.amdhsa_system_sgpr_workgroup_info 0
		.amdhsa_system_vgpr_workitem_id 0
		.amdhsa_next_free_vgpr 65
		.amdhsa_next_free_sgpr 22
		.amdhsa_reserve_vcc 1
		.amdhsa_reserve_flat_scratch 0
		.amdhsa_float_round_mode_32 0
		.amdhsa_float_round_mode_16_64 0
		.amdhsa_float_denorm_mode_32 3
		.amdhsa_float_denorm_mode_16_64 3
		.amdhsa_dx10_clamp 1
		.amdhsa_ieee_mode 1
		.amdhsa_fp16_overflow 0
		.amdhsa_exception_fp_ieee_invalid_op 0
		.amdhsa_exception_fp_denorm_src 0
		.amdhsa_exception_fp_ieee_div_zero 0
		.amdhsa_exception_fp_ieee_overflow 0
		.amdhsa_exception_fp_ieee_underflow 0
		.amdhsa_exception_fp_ieee_inexact 0
		.amdhsa_exception_int_div_zero 0
	.end_amdhsa_kernel
	.text
.Lfunc_end0:
	.size	fft_rtc_fwd_len1750_factors_2_5_5_7_5_wgs_175_tpt_175_halfLds_sp_ip_CI_unitstride_sbrr_dirReg, .Lfunc_end0-fft_rtc_fwd_len1750_factors_2_5_5_7_5_wgs_175_tpt_175_halfLds_sp_ip_CI_unitstride_sbrr_dirReg
                                        ; -- End function
	.section	.AMDGPU.csdata,"",@progbits
; Kernel info:
; codeLenInByte = 7172
; NumSgprs: 26
; NumVgprs: 65
; ScratchSize: 0
; MemoryBound: 0
; FloatMode: 240
; IeeeMode: 1
; LDSByteSize: 0 bytes/workgroup (compile time only)
; SGPRBlocks: 3
; VGPRBlocks: 16
; NumSGPRsForWavesPerEU: 26
; NumVGPRsForWavesPerEU: 65
; Occupancy: 3
; WaveLimiterHint : 1
; COMPUTE_PGM_RSRC2:SCRATCH_EN: 0
; COMPUTE_PGM_RSRC2:USER_SGPR: 6
; COMPUTE_PGM_RSRC2:TRAP_HANDLER: 0
; COMPUTE_PGM_RSRC2:TGID_X_EN: 1
; COMPUTE_PGM_RSRC2:TGID_Y_EN: 0
; COMPUTE_PGM_RSRC2:TGID_Z_EN: 0
; COMPUTE_PGM_RSRC2:TIDIG_COMP_CNT: 0
	.type	__hip_cuid_34c26c4f04966ccb,@object ; @__hip_cuid_34c26c4f04966ccb
	.section	.bss,"aw",@nobits
	.globl	__hip_cuid_34c26c4f04966ccb
__hip_cuid_34c26c4f04966ccb:
	.byte	0                               ; 0x0
	.size	__hip_cuid_34c26c4f04966ccb, 1

	.ident	"AMD clang version 19.0.0git (https://github.com/RadeonOpenCompute/llvm-project roc-6.4.0 25133 c7fe45cf4b819c5991fe208aaa96edf142730f1d)"
	.section	".note.GNU-stack","",@progbits
	.addrsig
	.addrsig_sym __hip_cuid_34c26c4f04966ccb
	.amdgpu_metadata
---
amdhsa.kernels:
  - .args:
      - .actual_access:  read_only
        .address_space:  global
        .offset:         0
        .size:           8
        .value_kind:     global_buffer
      - .offset:         8
        .size:           8
        .value_kind:     by_value
      - .actual_access:  read_only
        .address_space:  global
        .offset:         16
        .size:           8
        .value_kind:     global_buffer
      - .actual_access:  read_only
        .address_space:  global
        .offset:         24
        .size:           8
        .value_kind:     global_buffer
      - .offset:         32
        .size:           8
        .value_kind:     by_value
      - .actual_access:  read_only
        .address_space:  global
        .offset:         40
        .size:           8
        .value_kind:     global_buffer
      - .actual_access:  read_only
        .address_space:  global
        .offset:         48
        .size:           8
        .value_kind:     global_buffer
      - .offset:         56
        .size:           4
        .value_kind:     by_value
      - .actual_access:  read_only
        .address_space:  global
        .offset:         64
        .size:           8
        .value_kind:     global_buffer
      - .actual_access:  read_only
        .address_space:  global
        .offset:         72
        .size:           8
        .value_kind:     global_buffer
      - .address_space:  global
        .offset:         80
        .size:           8
        .value_kind:     global_buffer
    .group_segment_fixed_size: 0
    .kernarg_segment_align: 8
    .kernarg_segment_size: 88
    .language:       OpenCL C
    .language_version:
      - 2
      - 0
    .max_flat_workgroup_size: 175
    .name:           fft_rtc_fwd_len1750_factors_2_5_5_7_5_wgs_175_tpt_175_halfLds_sp_ip_CI_unitstride_sbrr_dirReg
    .private_segment_fixed_size: 0
    .sgpr_count:     26
    .sgpr_spill_count: 0
    .symbol:         fft_rtc_fwd_len1750_factors_2_5_5_7_5_wgs_175_tpt_175_halfLds_sp_ip_CI_unitstride_sbrr_dirReg.kd
    .uniform_work_group_size: 1
    .uses_dynamic_stack: false
    .vgpr_count:     65
    .vgpr_spill_count: 0
    .wavefront_size: 64
amdhsa.target:   amdgcn-amd-amdhsa--gfx906
amdhsa.version:
  - 1
  - 2
...

	.end_amdgpu_metadata
